;; amdgpu-corpus repo=zjin-lcf/HeCBench kind=compiled arch=gfx1250 opt=O3
	.amdgcn_target "amdgcn-amd-amdhsa--gfx1250"
	.amdhsa_code_object_version 6
	.section	.text._Z23store_kv_cache_256x1_v4ImEvPmS0_PKT_mPKmS5_mmm,"axG",@progbits,_Z23store_kv_cache_256x1_v4ImEvPmS0_PKT_mPKmS5_mmm,comdat
	.protected	_Z23store_kv_cache_256x1_v4ImEvPmS0_PKT_mPKmS5_mmm ; -- Begin function _Z23store_kv_cache_256x1_v4ImEvPmS0_PKT_mPKmS5_mmm
	.globl	_Z23store_kv_cache_256x1_v4ImEvPmS0_PKT_mPKmS5_mmm
	.p2align	8
	.type	_Z23store_kv_cache_256x1_v4ImEvPmS0_PKT_mPKmS5_mmm,@function
_Z23store_kv_cache_256x1_v4ImEvPmS0_PKT_mPKmS5_mmm: ; @_Z23store_kv_cache_256x1_v4ImEvPmS0_PKT_mPKmS5_mmm
; %bb.0:
	s_load_b32 s2, s[0:1], 0x54
	s_bfe_u32 s3, ttmp6, 0x4000c
	s_and_b32 s4, ttmp6, 15
	s_add_co_i32 s3, s3, 1
	s_getreg_b32 s5, hwreg(HW_REG_IB_STS2, 6, 4)
	s_mul_i32 s3, ttmp9, s3
	v_mov_b32_e32 v1, 0
	s_add_co_i32 s4, s4, s3
	s_wait_kmcnt 0x0
	s_and_b32 s6, s2, 0xffff
	s_cmp_eq_u32 s5, 0
	s_load_b64 s[2:3], s[0:1], 0x18
	s_cselect_b32 s4, ttmp9, s4
	s_delay_alu instid0(SALU_CYCLE_1) | instskip(NEXT) | instid1(VALU_DEP_1)
	v_mad_u32 v2, s4, s6, v0
	v_lshrrev_b32_e32 v0, 5, v2
	s_wait_kmcnt 0x0
	s_delay_alu instid0(VALU_DEP_1)
	v_cmp_gt_u64_e32 vcc_lo, s[2:3], v[0:1]
	s_and_saveexec_b32 s2, vcc_lo
	s_cbranch_execz .LBB0_4
; %bb.1:
	s_load_b64 s[2:3], s[0:1], 0x40
	s_wait_kmcnt 0x0
	s_cmp_eq_u64 s[2:3], 0
	s_cbranch_scc1 .LBB0_4
; %bb.2:
	s_load_b64 s[4:5], s[0:1], 0x10
	v_dual_mov_b32 v3, 0 :: v_dual_bitop2_b32 v2, 31, v2 bitop3:0x40
	s_delay_alu instid0(VALU_DEP_1)
	v_lshlrev_b32_e32 v2, 5, v2
	s_wait_kmcnt 0x0
	global_load_b64 v[4:5], v0, s[4:5] scale_offset
	s_wait_xcnt 0x0
	s_load_b256 s[4:11], s[0:1], 0x20
	s_wait_kmcnt 0x0
	v_mul_u64_e32 v[0:1], s[10:11], v[0:1]
	s_delay_alu instid0(VALU_DEP_1) | instskip(NEXT) | instid1(VALU_DEP_1)
	v_lshl_add_u64 v[6:7], v[0:1], 3, v[2:3]
	v_add_nc_u64_e32 v[0:1], s[4:5], v[6:7]
	v_add_nc_u64_e32 v[6:7], s[6:7], v[6:7]
	s_wait_loadcnt 0x0
	v_mul_u64_e32 v[4:5], s[8:9], v[4:5]
	s_load_b128 s[8:11], s[0:1], 0x0
	s_delay_alu instid0(VALU_DEP_1) | instskip(SKIP_1) | instid1(VALU_DEP_1)
	v_lshl_add_u64 v[4:5], v[4:5], 3, v[2:3]
	s_wait_kmcnt 0x0
	v_add_nc_u64_e32 v[2:3], s[8:9], v[4:5]
	v_add_nc_u64_e32 v[4:5], s[10:11], v[4:5]
.LBB0_3:                                ; =>This Inner Loop Header: Depth=1
	s_clause 0x1
	global_load_b128 v[8:11], v[0:1], off
	global_load_b128 v[12:15], v[0:1], off offset:16
	s_clause 0x1
	global_load_b128 v[16:19], v[6:7], off
	global_load_b128 v[20:23], v[6:7], off offset:16
	s_wait_xcnt 0x2
	v_add_nc_u64_e32 v[0:1], 0x400, v[0:1]
	s_wait_xcnt 0x0
	v_add_nc_u64_e32 v[6:7], 0x400, v[6:7]
	s_add_nc_u64 s[2:3], s[2:3], -1
	s_wait_loadcnt 0x3
	global_store_b128 v[2:3], v[8:11], off
	s_wait_loadcnt 0x2
	global_store_b128 v[2:3], v[12:15], off offset:16
	s_wait_loadcnt 0x1
	global_store_b128 v[4:5], v[16:19], off
	s_wait_loadcnt 0x0
	global_store_b128 v[4:5], v[20:23], off offset:16
	s_wait_xcnt 0x2
	v_add_nc_u64_e32 v[2:3], 0x400, v[2:3]
	s_wait_xcnt 0x0
	v_add_nc_u64_e32 v[4:5], 0x400, v[4:5]
	s_cmp_lg_u64 s[2:3], 0
	s_cbranch_scc1 .LBB0_3
.LBB0_4:
	s_endpgm
	.section	.rodata,"a",@progbits
	.p2align	6, 0x0
	.amdhsa_kernel _Z23store_kv_cache_256x1_v4ImEvPmS0_PKT_mPKmS5_mmm
		.amdhsa_group_segment_fixed_size 0
		.amdhsa_private_segment_fixed_size 0
		.amdhsa_kernarg_size 328
		.amdhsa_user_sgpr_count 2
		.amdhsa_user_sgpr_dispatch_ptr 0
		.amdhsa_user_sgpr_queue_ptr 0
		.amdhsa_user_sgpr_kernarg_segment_ptr 1
		.amdhsa_user_sgpr_dispatch_id 0
		.amdhsa_user_sgpr_kernarg_preload_length 0
		.amdhsa_user_sgpr_kernarg_preload_offset 0
		.amdhsa_user_sgpr_private_segment_size 0
		.amdhsa_wavefront_size32 1
		.amdhsa_uses_dynamic_stack 0
		.amdhsa_enable_private_segment 0
		.amdhsa_system_sgpr_workgroup_id_x 1
		.amdhsa_system_sgpr_workgroup_id_y 0
		.amdhsa_system_sgpr_workgroup_id_z 0
		.amdhsa_system_sgpr_workgroup_info 0
		.amdhsa_system_vgpr_workitem_id 0
		.amdhsa_next_free_vgpr 24
		.amdhsa_next_free_sgpr 12
		.amdhsa_named_barrier_count 0
		.amdhsa_reserve_vcc 1
		.amdhsa_float_round_mode_32 0
		.amdhsa_float_round_mode_16_64 0
		.amdhsa_float_denorm_mode_32 3
		.amdhsa_float_denorm_mode_16_64 3
		.amdhsa_fp16_overflow 0
		.amdhsa_memory_ordered 1
		.amdhsa_forward_progress 1
		.amdhsa_inst_pref_size 4
		.amdhsa_round_robin_scheduling 0
		.amdhsa_exception_fp_ieee_invalid_op 0
		.amdhsa_exception_fp_denorm_src 0
		.amdhsa_exception_fp_ieee_div_zero 0
		.amdhsa_exception_fp_ieee_overflow 0
		.amdhsa_exception_fp_ieee_underflow 0
		.amdhsa_exception_fp_ieee_inexact 0
		.amdhsa_exception_int_div_zero 0
	.end_amdhsa_kernel
	.section	.text._Z23store_kv_cache_256x1_v4ImEvPmS0_PKT_mPKmS5_mmm,"axG",@progbits,_Z23store_kv_cache_256x1_v4ImEvPmS0_PKT_mPKmS5_mmm,comdat
.Lfunc_end0:
	.size	_Z23store_kv_cache_256x1_v4ImEvPmS0_PKT_mPKmS5_mmm, .Lfunc_end0-_Z23store_kv_cache_256x1_v4ImEvPmS0_PKT_mPKmS5_mmm
                                        ; -- End function
	.set _Z23store_kv_cache_256x1_v4ImEvPmS0_PKT_mPKmS5_mmm.num_vgpr, 24
	.set _Z23store_kv_cache_256x1_v4ImEvPmS0_PKT_mPKmS5_mmm.num_agpr, 0
	.set _Z23store_kv_cache_256x1_v4ImEvPmS0_PKT_mPKmS5_mmm.numbered_sgpr, 12
	.set _Z23store_kv_cache_256x1_v4ImEvPmS0_PKT_mPKmS5_mmm.num_named_barrier, 0
	.set _Z23store_kv_cache_256x1_v4ImEvPmS0_PKT_mPKmS5_mmm.private_seg_size, 0
	.set _Z23store_kv_cache_256x1_v4ImEvPmS0_PKT_mPKmS5_mmm.uses_vcc, 1
	.set _Z23store_kv_cache_256x1_v4ImEvPmS0_PKT_mPKmS5_mmm.uses_flat_scratch, 0
	.set _Z23store_kv_cache_256x1_v4ImEvPmS0_PKT_mPKmS5_mmm.has_dyn_sized_stack, 0
	.set _Z23store_kv_cache_256x1_v4ImEvPmS0_PKT_mPKmS5_mmm.has_recursion, 0
	.set _Z23store_kv_cache_256x1_v4ImEvPmS0_PKT_mPKmS5_mmm.has_indirect_call, 0
	.section	.AMDGPU.csdata,"",@progbits
; Kernel info:
; codeLenInByte = 432
; TotalNumSgprs: 14
; NumVgprs: 24
; ScratchSize: 0
; MemoryBound: 0
; FloatMode: 240
; IeeeMode: 1
; LDSByteSize: 0 bytes/workgroup (compile time only)
; SGPRBlocks: 0
; VGPRBlocks: 1
; NumSGPRsForWavesPerEU: 14
; NumVGPRsForWavesPerEU: 24
; NamedBarCnt: 0
; Occupancy: 16
; WaveLimiterHint : 0
; COMPUTE_PGM_RSRC2:SCRATCH_EN: 0
; COMPUTE_PGM_RSRC2:USER_SGPR: 2
; COMPUTE_PGM_RSRC2:TRAP_HANDLER: 0
; COMPUTE_PGM_RSRC2:TGID_X_EN: 1
; COMPUTE_PGM_RSRC2:TGID_Y_EN: 0
; COMPUTE_PGM_RSRC2:TGID_Z_EN: 0
; COMPUTE_PGM_RSRC2:TIDIG_COMP_CNT: 0
	.section	.text._Z23store_kv_cache_256x1_v2ImEvPmS0_PKT_mPKmS5_mmm,"axG",@progbits,_Z23store_kv_cache_256x1_v2ImEvPmS0_PKT_mPKmS5_mmm,comdat
	.protected	_Z23store_kv_cache_256x1_v2ImEvPmS0_PKT_mPKmS5_mmm ; -- Begin function _Z23store_kv_cache_256x1_v2ImEvPmS0_PKT_mPKmS5_mmm
	.globl	_Z23store_kv_cache_256x1_v2ImEvPmS0_PKT_mPKmS5_mmm
	.p2align	8
	.type	_Z23store_kv_cache_256x1_v2ImEvPmS0_PKT_mPKmS5_mmm,@function
_Z23store_kv_cache_256x1_v2ImEvPmS0_PKT_mPKmS5_mmm: ; @_Z23store_kv_cache_256x1_v2ImEvPmS0_PKT_mPKmS5_mmm
; %bb.0:
	s_load_b32 s2, s[0:1], 0x54
	s_bfe_u32 s3, ttmp6, 0x4000c
	s_and_b32 s4, ttmp6, 15
	s_add_co_i32 s3, s3, 1
	s_getreg_b32 s5, hwreg(HW_REG_IB_STS2, 6, 4)
	s_mul_i32 s3, ttmp9, s3
	v_mov_b32_e32 v1, 0
	s_add_co_i32 s4, s4, s3
	s_wait_kmcnt 0x0
	s_and_b32 s6, s2, 0xffff
	s_cmp_eq_u32 s5, 0
	s_load_b64 s[2:3], s[0:1], 0x18
	s_cselect_b32 s4, ttmp9, s4
	s_delay_alu instid0(SALU_CYCLE_1) | instskip(NEXT) | instid1(VALU_DEP_1)
	v_mad_u32 v2, s4, s6, v0
	v_lshrrev_b32_e32 v0, 5, v2
	s_wait_kmcnt 0x0
	s_delay_alu instid0(VALU_DEP_1)
	v_cmp_gt_u64_e32 vcc_lo, s[2:3], v[0:1]
	s_and_saveexec_b32 s2, vcc_lo
	s_cbranch_execz .LBB1_4
; %bb.1:
	s_load_b64 s[2:3], s[0:1], 0x40
	s_wait_kmcnt 0x0
	s_cmp_eq_u64 s[2:3], 0
	s_cbranch_scc1 .LBB1_4
; %bb.2:
	s_load_b64 s[4:5], s[0:1], 0x10
	v_dual_mov_b32 v3, 0 :: v_dual_bitop2_b32 v2, 31, v2 bitop3:0x40
	s_delay_alu instid0(VALU_DEP_1)
	v_lshlrev_b32_e32 v2, 4, v2
	s_wait_kmcnt 0x0
	global_load_b64 v[4:5], v0, s[4:5] scale_offset
	s_wait_xcnt 0x0
	s_load_b256 s[4:11], s[0:1], 0x20
	s_wait_kmcnt 0x0
	v_mul_u64_e32 v[0:1], s[10:11], v[0:1]
	s_delay_alu instid0(VALU_DEP_1) | instskip(NEXT) | instid1(VALU_DEP_1)
	v_lshl_add_u64 v[6:7], v[0:1], 3, v[2:3]
	v_add_nc_u64_e32 v[0:1], s[4:5], v[6:7]
	v_add_nc_u64_e32 v[6:7], s[6:7], v[6:7]
	s_wait_loadcnt 0x0
	v_mul_u64_e32 v[4:5], s[8:9], v[4:5]
	s_load_b128 s[8:11], s[0:1], 0x0
	s_delay_alu instid0(VALU_DEP_1) | instskip(SKIP_1) | instid1(VALU_DEP_1)
	v_lshl_add_u64 v[4:5], v[4:5], 3, v[2:3]
	s_wait_kmcnt 0x0
	v_add_nc_u64_e32 v[2:3], s[8:9], v[4:5]
	v_add_nc_u64_e32 v[4:5], s[10:11], v[4:5]
.LBB1_3:                                ; =>This Inner Loop Header: Depth=1
	global_load_b128 v[8:11], v[0:1], off
	global_load_b128 v[12:15], v[6:7], off
	s_wait_xcnt 0x1
	v_add_nc_u64_e32 v[0:1], 0x200, v[0:1]
	s_wait_xcnt 0x0
	v_add_nc_u64_e32 v[6:7], 0x200, v[6:7]
	s_add_nc_u64 s[2:3], s[2:3], -1
	s_wait_loadcnt 0x1
	global_store_b128 v[2:3], v[8:11], off
	s_wait_loadcnt 0x0
	global_store_b128 v[4:5], v[12:15], off
	s_wait_xcnt 0x1
	v_add_nc_u64_e32 v[2:3], 0x200, v[2:3]
	s_wait_xcnt 0x0
	v_add_nc_u64_e32 v[4:5], 0x200, v[4:5]
	s_cmp_lg_u64 s[2:3], 0
	s_cbranch_scc1 .LBB1_3
.LBB1_4:
	s_endpgm
	.section	.rodata,"a",@progbits
	.p2align	6, 0x0
	.amdhsa_kernel _Z23store_kv_cache_256x1_v2ImEvPmS0_PKT_mPKmS5_mmm
		.amdhsa_group_segment_fixed_size 0
		.amdhsa_private_segment_fixed_size 0
		.amdhsa_kernarg_size 328
		.amdhsa_user_sgpr_count 2
		.amdhsa_user_sgpr_dispatch_ptr 0
		.amdhsa_user_sgpr_queue_ptr 0
		.amdhsa_user_sgpr_kernarg_segment_ptr 1
		.amdhsa_user_sgpr_dispatch_id 0
		.amdhsa_user_sgpr_kernarg_preload_length 0
		.amdhsa_user_sgpr_kernarg_preload_offset 0
		.amdhsa_user_sgpr_private_segment_size 0
		.amdhsa_wavefront_size32 1
		.amdhsa_uses_dynamic_stack 0
		.amdhsa_enable_private_segment 0
		.amdhsa_system_sgpr_workgroup_id_x 1
		.amdhsa_system_sgpr_workgroup_id_y 0
		.amdhsa_system_sgpr_workgroup_id_z 0
		.amdhsa_system_sgpr_workgroup_info 0
		.amdhsa_system_vgpr_workitem_id 0
		.amdhsa_next_free_vgpr 16
		.amdhsa_next_free_sgpr 12
		.amdhsa_named_barrier_count 0
		.amdhsa_reserve_vcc 1
		.amdhsa_float_round_mode_32 0
		.amdhsa_float_round_mode_16_64 0
		.amdhsa_float_denorm_mode_32 3
		.amdhsa_float_denorm_mode_16_64 3
		.amdhsa_fp16_overflow 0
		.amdhsa_memory_ordered 1
		.amdhsa_forward_progress 1
		.amdhsa_inst_pref_size 3
		.amdhsa_round_robin_scheduling 0
		.amdhsa_exception_fp_ieee_invalid_op 0
		.amdhsa_exception_fp_denorm_src 0
		.amdhsa_exception_fp_ieee_div_zero 0
		.amdhsa_exception_fp_ieee_overflow 0
		.amdhsa_exception_fp_ieee_underflow 0
		.amdhsa_exception_fp_ieee_inexact 0
		.amdhsa_exception_int_div_zero 0
	.end_amdhsa_kernel
	.section	.text._Z23store_kv_cache_256x1_v2ImEvPmS0_PKT_mPKmS5_mmm,"axG",@progbits,_Z23store_kv_cache_256x1_v2ImEvPmS0_PKT_mPKmS5_mmm,comdat
.Lfunc_end1:
	.size	_Z23store_kv_cache_256x1_v2ImEvPmS0_PKT_mPKmS5_mmm, .Lfunc_end1-_Z23store_kv_cache_256x1_v2ImEvPmS0_PKT_mPKmS5_mmm
                                        ; -- End function
	.set _Z23store_kv_cache_256x1_v2ImEvPmS0_PKT_mPKmS5_mmm.num_vgpr, 16
	.set _Z23store_kv_cache_256x1_v2ImEvPmS0_PKT_mPKmS5_mmm.num_agpr, 0
	.set _Z23store_kv_cache_256x1_v2ImEvPmS0_PKT_mPKmS5_mmm.numbered_sgpr, 12
	.set _Z23store_kv_cache_256x1_v2ImEvPmS0_PKT_mPKmS5_mmm.num_named_barrier, 0
	.set _Z23store_kv_cache_256x1_v2ImEvPmS0_PKT_mPKmS5_mmm.private_seg_size, 0
	.set _Z23store_kv_cache_256x1_v2ImEvPmS0_PKT_mPKmS5_mmm.uses_vcc, 1
	.set _Z23store_kv_cache_256x1_v2ImEvPmS0_PKT_mPKmS5_mmm.uses_flat_scratch, 0
	.set _Z23store_kv_cache_256x1_v2ImEvPmS0_PKT_mPKmS5_mmm.has_dyn_sized_stack, 0
	.set _Z23store_kv_cache_256x1_v2ImEvPmS0_PKT_mPKmS5_mmm.has_recursion, 0
	.set _Z23store_kv_cache_256x1_v2ImEvPmS0_PKT_mPKmS5_mmm.has_indirect_call, 0
	.section	.AMDGPU.csdata,"",@progbits
; Kernel info:
; codeLenInByte = 368
; TotalNumSgprs: 14
; NumVgprs: 16
; ScratchSize: 0
; MemoryBound: 0
; FloatMode: 240
; IeeeMode: 1
; LDSByteSize: 0 bytes/workgroup (compile time only)
; SGPRBlocks: 0
; VGPRBlocks: 0
; NumSGPRsForWavesPerEU: 14
; NumVGPRsForWavesPerEU: 16
; NamedBarCnt: 0
; Occupancy: 16
; WaveLimiterHint : 0
; COMPUTE_PGM_RSRC2:SCRATCH_EN: 0
; COMPUTE_PGM_RSRC2:USER_SGPR: 2
; COMPUTE_PGM_RSRC2:TRAP_HANDLER: 0
; COMPUTE_PGM_RSRC2:TGID_X_EN: 1
; COMPUTE_PGM_RSRC2:TGID_Y_EN: 0
; COMPUTE_PGM_RSRC2:TGID_Z_EN: 0
; COMPUTE_PGM_RSRC2:TIDIG_COMP_CNT: 0
	.section	.text._Z20store_kv_cache_256x1ImEvPmS0_PKT_mPKmS5_mmm,"axG",@progbits,_Z20store_kv_cache_256x1ImEvPmS0_PKT_mPKmS5_mmm,comdat
	.protected	_Z20store_kv_cache_256x1ImEvPmS0_PKT_mPKmS5_mmm ; -- Begin function _Z20store_kv_cache_256x1ImEvPmS0_PKT_mPKmS5_mmm
	.globl	_Z20store_kv_cache_256x1ImEvPmS0_PKT_mPKmS5_mmm
	.p2align	8
	.type	_Z20store_kv_cache_256x1ImEvPmS0_PKT_mPKmS5_mmm,@function
_Z20store_kv_cache_256x1ImEvPmS0_PKT_mPKmS5_mmm: ; @_Z20store_kv_cache_256x1ImEvPmS0_PKT_mPKmS5_mmm
; %bb.0:
	s_load_b32 s2, s[0:1], 0x54
	s_bfe_u32 s3, ttmp6, 0x4000c
	s_and_b32 s4, ttmp6, 15
	s_add_co_i32 s3, s3, 1
	s_getreg_b32 s5, hwreg(HW_REG_IB_STS2, 6, 4)
	s_mul_i32 s3, ttmp9, s3
	v_mov_b32_e32 v1, 0
	s_add_co_i32 s4, s4, s3
	s_wait_kmcnt 0x0
	s_and_b32 s6, s2, 0xffff
	s_cmp_eq_u32 s5, 0
	s_load_b64 s[2:3], s[0:1], 0x18
	s_cselect_b32 s4, ttmp9, s4
	s_delay_alu instid0(SALU_CYCLE_1) | instskip(NEXT) | instid1(VALU_DEP_1)
	v_mad_u32 v2, s4, s6, v0
	v_lshrrev_b32_e32 v0, 5, v2
	s_wait_kmcnt 0x0
	s_delay_alu instid0(VALU_DEP_1)
	v_cmp_gt_u64_e32 vcc_lo, s[2:3], v[0:1]
	s_and_saveexec_b32 s2, vcc_lo
	s_cbranch_execz .LBB2_4
; %bb.1:
	s_load_b64 s[2:3], s[0:1], 0x40
	s_wait_kmcnt 0x0
	s_cmp_eq_u64 s[2:3], 0
	s_cbranch_scc1 .LBB2_4
; %bb.2:
	s_load_b64 s[4:5], s[0:1], 0x10
	v_dual_mov_b32 v3, 0 :: v_dual_bitop2_b32 v2, 31, v2 bitop3:0x40
	s_delay_alu instid0(VALU_DEP_1)
	v_lshlrev_b32_e32 v2, 3, v2
	s_wait_kmcnt 0x0
	global_load_b64 v[4:5], v0, s[4:5] scale_offset
	s_wait_xcnt 0x0
	s_load_b256 s[4:11], s[0:1], 0x20
	s_wait_kmcnt 0x0
	v_mul_u64_e32 v[0:1], s[10:11], v[0:1]
	s_delay_alu instid0(VALU_DEP_1) | instskip(NEXT) | instid1(VALU_DEP_1)
	v_lshl_add_u64 v[6:7], v[0:1], 3, v[2:3]
	v_add_nc_u64_e32 v[0:1], s[4:5], v[6:7]
	s_wait_loadcnt 0x0
	v_mul_u64_e32 v[4:5], s[8:9], v[4:5]
	s_load_b128 s[8:11], s[0:1], 0x0
	s_delay_alu instid0(VALU_DEP_1) | instskip(SKIP_2) | instid1(VALU_DEP_2)
	v_lshl_add_u64 v[8:9], v[4:5], 3, v[2:3]
	v_add_nc_u64_e32 v[2:3], s[6:7], v[6:7]
	s_wait_kmcnt 0x0
	v_add_nc_u64_e32 v[4:5], s[8:9], v[8:9]
	v_add_nc_u64_e32 v[6:7], s[10:11], v[8:9]
.LBB2_3:                                ; =>This Inner Loop Header: Depth=1
	global_load_b64 v[8:9], v[0:1], off
	global_load_b64 v[10:11], v[2:3], off
	s_wait_xcnt 0x1
	v_add_nc_u64_e32 v[0:1], 0x100, v[0:1]
	s_wait_xcnt 0x0
	v_add_nc_u64_e32 v[2:3], 0x100, v[2:3]
	s_add_nc_u64 s[2:3], s[2:3], -1
	s_wait_loadcnt 0x1
	global_store_b64 v[4:5], v[8:9], off
	s_wait_loadcnt 0x0
	global_store_b64 v[6:7], v[10:11], off
	s_wait_xcnt 0x1
	v_add_nc_u64_e32 v[4:5], 0x100, v[4:5]
	s_wait_xcnt 0x0
	v_add_nc_u64_e32 v[6:7], 0x100, v[6:7]
	s_cmp_lg_u64 s[2:3], 0
	s_cbranch_scc1 .LBB2_3
.LBB2_4:
	s_endpgm
	.section	.rodata,"a",@progbits
	.p2align	6, 0x0
	.amdhsa_kernel _Z20store_kv_cache_256x1ImEvPmS0_PKT_mPKmS5_mmm
		.amdhsa_group_segment_fixed_size 0
		.amdhsa_private_segment_fixed_size 0
		.amdhsa_kernarg_size 328
		.amdhsa_user_sgpr_count 2
		.amdhsa_user_sgpr_dispatch_ptr 0
		.amdhsa_user_sgpr_queue_ptr 0
		.amdhsa_user_sgpr_kernarg_segment_ptr 1
		.amdhsa_user_sgpr_dispatch_id 0
		.amdhsa_user_sgpr_kernarg_preload_length 0
		.amdhsa_user_sgpr_kernarg_preload_offset 0
		.amdhsa_user_sgpr_private_segment_size 0
		.amdhsa_wavefront_size32 1
		.amdhsa_uses_dynamic_stack 0
		.amdhsa_enable_private_segment 0
		.amdhsa_system_sgpr_workgroup_id_x 1
		.amdhsa_system_sgpr_workgroup_id_y 0
		.amdhsa_system_sgpr_workgroup_id_z 0
		.amdhsa_system_sgpr_workgroup_info 0
		.amdhsa_system_vgpr_workitem_id 0
		.amdhsa_next_free_vgpr 12
		.amdhsa_next_free_sgpr 12
		.amdhsa_named_barrier_count 0
		.amdhsa_reserve_vcc 1
		.amdhsa_float_round_mode_32 0
		.amdhsa_float_round_mode_16_64 0
		.amdhsa_float_denorm_mode_32 3
		.amdhsa_float_denorm_mode_16_64 3
		.amdhsa_fp16_overflow 0
		.amdhsa_memory_ordered 1
		.amdhsa_forward_progress 1
		.amdhsa_inst_pref_size 3
		.amdhsa_round_robin_scheduling 0
		.amdhsa_exception_fp_ieee_invalid_op 0
		.amdhsa_exception_fp_denorm_src 0
		.amdhsa_exception_fp_ieee_div_zero 0
		.amdhsa_exception_fp_ieee_overflow 0
		.amdhsa_exception_fp_ieee_underflow 0
		.amdhsa_exception_fp_ieee_inexact 0
		.amdhsa_exception_int_div_zero 0
	.end_amdhsa_kernel
	.section	.text._Z20store_kv_cache_256x1ImEvPmS0_PKT_mPKmS5_mmm,"axG",@progbits,_Z20store_kv_cache_256x1ImEvPmS0_PKT_mPKmS5_mmm,comdat
.Lfunc_end2:
	.size	_Z20store_kv_cache_256x1ImEvPmS0_PKT_mPKmS5_mmm, .Lfunc_end2-_Z20store_kv_cache_256x1ImEvPmS0_PKT_mPKmS5_mmm
                                        ; -- End function
	.set _Z20store_kv_cache_256x1ImEvPmS0_PKT_mPKmS5_mmm.num_vgpr, 12
	.set _Z20store_kv_cache_256x1ImEvPmS0_PKT_mPKmS5_mmm.num_agpr, 0
	.set _Z20store_kv_cache_256x1ImEvPmS0_PKT_mPKmS5_mmm.numbered_sgpr, 12
	.set _Z20store_kv_cache_256x1ImEvPmS0_PKT_mPKmS5_mmm.num_named_barrier, 0
	.set _Z20store_kv_cache_256x1ImEvPmS0_PKT_mPKmS5_mmm.private_seg_size, 0
	.set _Z20store_kv_cache_256x1ImEvPmS0_PKT_mPKmS5_mmm.uses_vcc, 1
	.set _Z20store_kv_cache_256x1ImEvPmS0_PKT_mPKmS5_mmm.uses_flat_scratch, 0
	.set _Z20store_kv_cache_256x1ImEvPmS0_PKT_mPKmS5_mmm.has_dyn_sized_stack, 0
	.set _Z20store_kv_cache_256x1ImEvPmS0_PKT_mPKmS5_mmm.has_recursion, 0
	.set _Z20store_kv_cache_256x1ImEvPmS0_PKT_mPKmS5_mmm.has_indirect_call, 0
	.section	.AMDGPU.csdata,"",@progbits
; Kernel info:
; codeLenInByte = 368
; TotalNumSgprs: 14
; NumVgprs: 12
; ScratchSize: 0
; MemoryBound: 0
; FloatMode: 240
; IeeeMode: 1
; LDSByteSize: 0 bytes/workgroup (compile time only)
; SGPRBlocks: 0
; VGPRBlocks: 0
; NumSGPRsForWavesPerEU: 14
; NumVGPRsForWavesPerEU: 12
; NamedBarCnt: 0
; Occupancy: 16
; WaveLimiterHint : 0
; COMPUTE_PGM_RSRC2:SCRATCH_EN: 0
; COMPUTE_PGM_RSRC2:USER_SGPR: 2
; COMPUTE_PGM_RSRC2:TRAP_HANDLER: 0
; COMPUTE_PGM_RSRC2:TGID_X_EN: 1
; COMPUTE_PGM_RSRC2:TGID_Y_EN: 0
; COMPUTE_PGM_RSRC2:TGID_Z_EN: 0
; COMPUTE_PGM_RSRC2:TIDIG_COMP_CNT: 0
	.section	.text._Z20store_kv_cache_128x2ImEvPmS0_PKT_mPKmS5_mmm,"axG",@progbits,_Z20store_kv_cache_128x2ImEvPmS0_PKT_mPKmS5_mmm,comdat
	.protected	_Z20store_kv_cache_128x2ImEvPmS0_PKT_mPKmS5_mmm ; -- Begin function _Z20store_kv_cache_128x2ImEvPmS0_PKT_mPKmS5_mmm
	.globl	_Z20store_kv_cache_128x2ImEvPmS0_PKT_mPKmS5_mmm
	.p2align	8
	.type	_Z20store_kv_cache_128x2ImEvPmS0_PKT_mPKmS5_mmm,@function
_Z20store_kv_cache_128x2ImEvPmS0_PKT_mPKmS5_mmm: ; @_Z20store_kv_cache_128x2ImEvPmS0_PKT_mPKmS5_mmm
; %bb.0:
	s_load_b32 s2, s[0:1], 0x54
	s_bfe_u32 s3, ttmp6, 0x4000c
	s_and_b32 s4, ttmp6, 15
	s_add_co_i32 s3, s3, 1
	s_getreg_b32 s5, hwreg(HW_REG_IB_STS2, 6, 4)
	s_mul_i32 s3, ttmp9, s3
	v_mov_b32_e32 v1, 0
	s_add_co_i32 s4, s4, s3
	s_wait_kmcnt 0x0
	s_and_b32 s6, s2, 0xffff
	s_cmp_eq_u32 s5, 0
	s_load_b64 s[2:3], s[0:1], 0x18
	s_cselect_b32 s4, ttmp9, s4
	s_delay_alu instid0(SALU_CYCLE_1) | instskip(NEXT) | instid1(VALU_DEP_1)
	v_mad_u32 v2, s4, s6, v0
	v_lshrrev_b32_e32 v0, 5, v2
	s_wait_kmcnt 0x0
	s_delay_alu instid0(VALU_DEP_1)
	v_cmp_gt_u64_e32 vcc_lo, s[2:3], v[0:1]
	s_and_saveexec_b32 s2, vcc_lo
	s_cbranch_execz .LBB3_4
; %bb.1:
	s_load_b64 s[2:3], s[0:1], 0x40
	s_wait_kmcnt 0x0
	s_cmp_eq_u64 s[2:3], 0
	s_cbranch_scc1 .LBB3_4
; %bb.2:
	s_load_b64 s[4:5], s[0:1], 0x10
	s_wait_kmcnt 0x0
	global_load_b64 v[4:5], v0, s[4:5] scale_offset
	s_wait_xcnt 0x0
	s_clause 0x1
	s_load_b256 s[4:11], s[0:1], 0x20
	s_load_b128 s[12:15], s[0:1], 0x0
	v_and_b32_e32 v3, 16, v2
	v_and_b32_e32 v2, 15, v2
	s_wait_kmcnt 0x0
	v_mul_u64_e32 v[0:1], s[10:11], v[0:1]
	v_mov_b32_e32 v6, s13
	v_cmp_eq_u32_e32 vcc_lo, 0, v3
	v_dual_mov_b32 v8, s12 :: v_dual_mov_b32 v9, s5
	v_dual_mov_b32 v10, s4 :: v_dual_lshlrev_b32 v2, 3, v2
	s_delay_alu instid0(VALU_DEP_4) | instskip(NEXT) | instid1(VALU_DEP_3)
	v_dual_mov_b32 v3, 0 :: v_dual_cndmask_b32 v7, s15, v6, vcc_lo
	v_cndmask_b32_e32 v6, s14, v8, vcc_lo
	s_delay_alu instid0(VALU_DEP_4) | instskip(NEXT) | instid1(VALU_DEP_4)
	v_cndmask_b32_e32 v9, s7, v9, vcc_lo
	v_cndmask_b32_e32 v8, s6, v10, vcc_lo
	s_delay_alu instid0(VALU_DEP_4) | instskip(NEXT) | instid1(VALU_DEP_1)
	v_lshl_add_u64 v[0:1], v[0:1], 3, v[2:3]
	v_add_nc_u64_e32 v[0:1], v[8:9], v[0:1]
	s_wait_loadcnt 0x0
	v_mul_u64_e32 v[4:5], s[8:9], v[4:5]
	s_delay_alu instid0(VALU_DEP_1) | instskip(NEXT) | instid1(VALU_DEP_1)
	v_lshl_add_u64 v[2:3], v[4:5], 3, v[2:3]
	v_add_nc_u64_e32 v[2:3], v[6:7], v[2:3]
.LBB3_3:                                ; =>This Inner Loop Header: Depth=1
	global_load_b64 v[4:5], v[0:1], off
	s_wait_xcnt 0x0
	v_add_nc_u64_e32 v[0:1], 0x80, v[0:1]
	s_add_nc_u64 s[2:3], s[2:3], -1
	s_delay_alu instid0(SALU_CYCLE_1)
	s_cmp_lg_u64 s[2:3], 0
	s_wait_loadcnt 0x0
	global_store_b64 v[2:3], v[4:5], off
	s_wait_xcnt 0x0
	v_add_nc_u64_e32 v[2:3], 0x80, v[2:3]
	s_cbranch_scc1 .LBB3_3
.LBB3_4:
	s_endpgm
	.section	.rodata,"a",@progbits
	.p2align	6, 0x0
	.amdhsa_kernel _Z20store_kv_cache_128x2ImEvPmS0_PKT_mPKmS5_mmm
		.amdhsa_group_segment_fixed_size 0
		.amdhsa_private_segment_fixed_size 0
		.amdhsa_kernarg_size 328
		.amdhsa_user_sgpr_count 2
		.amdhsa_user_sgpr_dispatch_ptr 0
		.amdhsa_user_sgpr_queue_ptr 0
		.amdhsa_user_sgpr_kernarg_segment_ptr 1
		.amdhsa_user_sgpr_dispatch_id 0
		.amdhsa_user_sgpr_kernarg_preload_length 0
		.amdhsa_user_sgpr_kernarg_preload_offset 0
		.amdhsa_user_sgpr_private_segment_size 0
		.amdhsa_wavefront_size32 1
		.amdhsa_uses_dynamic_stack 0
		.amdhsa_enable_private_segment 0
		.amdhsa_system_sgpr_workgroup_id_x 1
		.amdhsa_system_sgpr_workgroup_id_y 0
		.amdhsa_system_sgpr_workgroup_id_z 0
		.amdhsa_system_sgpr_workgroup_info 0
		.amdhsa_system_vgpr_workitem_id 0
		.amdhsa_next_free_vgpr 11
		.amdhsa_next_free_sgpr 16
		.amdhsa_named_barrier_count 0
		.amdhsa_reserve_vcc 1
		.amdhsa_float_round_mode_32 0
		.amdhsa_float_round_mode_16_64 0
		.amdhsa_float_denorm_mode_32 3
		.amdhsa_float_denorm_mode_16_64 3
		.amdhsa_fp16_overflow 0
		.amdhsa_memory_ordered 1
		.amdhsa_forward_progress 1
		.amdhsa_inst_pref_size 3
		.amdhsa_round_robin_scheduling 0
		.amdhsa_exception_fp_ieee_invalid_op 0
		.amdhsa_exception_fp_denorm_src 0
		.amdhsa_exception_fp_ieee_div_zero 0
		.amdhsa_exception_fp_ieee_overflow 0
		.amdhsa_exception_fp_ieee_underflow 0
		.amdhsa_exception_fp_ieee_inexact 0
		.amdhsa_exception_int_div_zero 0
	.end_amdhsa_kernel
	.section	.text._Z20store_kv_cache_128x2ImEvPmS0_PKT_mPKmS5_mmm,"axG",@progbits,_Z20store_kv_cache_128x2ImEvPmS0_PKT_mPKmS5_mmm,comdat
.Lfunc_end3:
	.size	_Z20store_kv_cache_128x2ImEvPmS0_PKT_mPKmS5_mmm, .Lfunc_end3-_Z20store_kv_cache_128x2ImEvPmS0_PKT_mPKmS5_mmm
                                        ; -- End function
	.set _Z20store_kv_cache_128x2ImEvPmS0_PKT_mPKmS5_mmm.num_vgpr, 11
	.set _Z20store_kv_cache_128x2ImEvPmS0_PKT_mPKmS5_mmm.num_agpr, 0
	.set _Z20store_kv_cache_128x2ImEvPmS0_PKT_mPKmS5_mmm.numbered_sgpr, 16
	.set _Z20store_kv_cache_128x2ImEvPmS0_PKT_mPKmS5_mmm.num_named_barrier, 0
	.set _Z20store_kv_cache_128x2ImEvPmS0_PKT_mPKmS5_mmm.private_seg_size, 0
	.set _Z20store_kv_cache_128x2ImEvPmS0_PKT_mPKmS5_mmm.uses_vcc, 1
	.set _Z20store_kv_cache_128x2ImEvPmS0_PKT_mPKmS5_mmm.uses_flat_scratch, 0
	.set _Z20store_kv_cache_128x2ImEvPmS0_PKT_mPKmS5_mmm.has_dyn_sized_stack, 0
	.set _Z20store_kv_cache_128x2ImEvPmS0_PKT_mPKmS5_mmm.has_recursion, 0
	.set _Z20store_kv_cache_128x2ImEvPmS0_PKT_mPKmS5_mmm.has_indirect_call, 0
	.section	.AMDGPU.csdata,"",@progbits
; Kernel info:
; codeLenInByte = 360
; TotalNumSgprs: 18
; NumVgprs: 11
; ScratchSize: 0
; MemoryBound: 0
; FloatMode: 240
; IeeeMode: 1
; LDSByteSize: 0 bytes/workgroup (compile time only)
; SGPRBlocks: 0
; VGPRBlocks: 0
; NumSGPRsForWavesPerEU: 18
; NumVGPRsForWavesPerEU: 11
; NamedBarCnt: 0
; Occupancy: 16
; WaveLimiterHint : 0
; COMPUTE_PGM_RSRC2:SCRATCH_EN: 0
; COMPUTE_PGM_RSRC2:USER_SGPR: 2
; COMPUTE_PGM_RSRC2:TRAP_HANDLER: 0
; COMPUTE_PGM_RSRC2:TGID_X_EN: 1
; COMPUTE_PGM_RSRC2:TGID_Y_EN: 0
; COMPUTE_PGM_RSRC2:TGID_Z_EN: 0
; COMPUTE_PGM_RSRC2:TIDIG_COMP_CNT: 0
	.section	.AMDGPU.gpr_maximums,"",@progbits
	.set amdgpu.max_num_vgpr, 0
	.set amdgpu.max_num_agpr, 0
	.set amdgpu.max_num_sgpr, 0
	.section	.AMDGPU.csdata,"",@progbits
	.type	__hip_cuid_150e5ba6a731f181,@object ; @__hip_cuid_150e5ba6a731f181
	.section	.bss,"aw",@nobits
	.globl	__hip_cuid_150e5ba6a731f181
__hip_cuid_150e5ba6a731f181:
	.byte	0                               ; 0x0
	.size	__hip_cuid_150e5ba6a731f181, 1

	.ident	"AMD clang version 22.0.0git (https://github.com/RadeonOpenCompute/llvm-project roc-7.2.4 26084 f58b06dce1f9c15707c5f808fd002e18c2accf7e)"
	.section	".note.GNU-stack","",@progbits
	.addrsig
	.addrsig_sym __hip_cuid_150e5ba6a731f181
	.amdgpu_metadata
---
amdhsa.kernels:
  - .args:
      - .actual_access:  write_only
        .address_space:  global
        .offset:         0
        .size:           8
        .value_kind:     global_buffer
      - .actual_access:  write_only
        .address_space:  global
        .offset:         8
        .size:           8
        .value_kind:     global_buffer
      - .actual_access:  read_only
        .address_space:  global
        .offset:         16
        .size:           8
        .value_kind:     global_buffer
      - .offset:         24
        .size:           8
        .value_kind:     by_value
      - .actual_access:  read_only
        .address_space:  global
        .offset:         32
        .size:           8
        .value_kind:     global_buffer
      - .actual_access:  read_only
        .address_space:  global
        .offset:         40
        .size:           8
        .value_kind:     global_buffer
      - .offset:         48
        .size:           8
        .value_kind:     by_value
      - .offset:         56
        .size:           8
        .value_kind:     by_value
      - .offset:         64
        .size:           8
        .value_kind:     by_value
      - .offset:         72
        .size:           4
        .value_kind:     hidden_block_count_x
      - .offset:         76
        .size:           4
        .value_kind:     hidden_block_count_y
      - .offset:         80
        .size:           4
        .value_kind:     hidden_block_count_z
      - .offset:         84
        .size:           2
        .value_kind:     hidden_group_size_x
      - .offset:         86
        .size:           2
        .value_kind:     hidden_group_size_y
      - .offset:         88
        .size:           2
        .value_kind:     hidden_group_size_z
      - .offset:         90
        .size:           2
        .value_kind:     hidden_remainder_x
      - .offset:         92
        .size:           2
        .value_kind:     hidden_remainder_y
      - .offset:         94
        .size:           2
        .value_kind:     hidden_remainder_z
      - .offset:         112
        .size:           8
        .value_kind:     hidden_global_offset_x
      - .offset:         120
        .size:           8
        .value_kind:     hidden_global_offset_y
      - .offset:         128
        .size:           8
        .value_kind:     hidden_global_offset_z
      - .offset:         136
        .size:           2
        .value_kind:     hidden_grid_dims
    .group_segment_fixed_size: 0
    .kernarg_segment_align: 8
    .kernarg_segment_size: 328
    .language:       OpenCL C
    .language_version:
      - 2
      - 0
    .max_flat_workgroup_size: 1024
    .name:           _Z23store_kv_cache_256x1_v4ImEvPmS0_PKT_mPKmS5_mmm
    .private_segment_fixed_size: 0
    .sgpr_count:     14
    .sgpr_spill_count: 0
    .symbol:         _Z23store_kv_cache_256x1_v4ImEvPmS0_PKT_mPKmS5_mmm.kd
    .uniform_work_group_size: 1
    .uses_dynamic_stack: false
    .vgpr_count:     24
    .vgpr_spill_count: 0
    .wavefront_size: 32
  - .args:
      - .actual_access:  write_only
        .address_space:  global
        .offset:         0
        .size:           8
        .value_kind:     global_buffer
      - .actual_access:  write_only
        .address_space:  global
        .offset:         8
        .size:           8
        .value_kind:     global_buffer
      - .actual_access:  read_only
        .address_space:  global
        .offset:         16
        .size:           8
        .value_kind:     global_buffer
      - .offset:         24
        .size:           8
        .value_kind:     by_value
      - .actual_access:  read_only
        .address_space:  global
        .offset:         32
        .size:           8
        .value_kind:     global_buffer
      - .actual_access:  read_only
        .address_space:  global
        .offset:         40
        .size:           8
        .value_kind:     global_buffer
      - .offset:         48
        .size:           8
        .value_kind:     by_value
      - .offset:         56
        .size:           8
        .value_kind:     by_value
      - .offset:         64
        .size:           8
        .value_kind:     by_value
      - .offset:         72
        .size:           4
        .value_kind:     hidden_block_count_x
      - .offset:         76
        .size:           4
        .value_kind:     hidden_block_count_y
      - .offset:         80
        .size:           4
        .value_kind:     hidden_block_count_z
      - .offset:         84
        .size:           2
        .value_kind:     hidden_group_size_x
      - .offset:         86
        .size:           2
        .value_kind:     hidden_group_size_y
      - .offset:         88
        .size:           2
        .value_kind:     hidden_group_size_z
      - .offset:         90
        .size:           2
        .value_kind:     hidden_remainder_x
      - .offset:         92
        .size:           2
        .value_kind:     hidden_remainder_y
      - .offset:         94
        .size:           2
        .value_kind:     hidden_remainder_z
      - .offset:         112
        .size:           8
        .value_kind:     hidden_global_offset_x
      - .offset:         120
        .size:           8
        .value_kind:     hidden_global_offset_y
      - .offset:         128
        .size:           8
        .value_kind:     hidden_global_offset_z
      - .offset:         136
        .size:           2
        .value_kind:     hidden_grid_dims
    .group_segment_fixed_size: 0
    .kernarg_segment_align: 8
    .kernarg_segment_size: 328
    .language:       OpenCL C
    .language_version:
      - 2
      - 0
    .max_flat_workgroup_size: 1024
    .name:           _Z23store_kv_cache_256x1_v2ImEvPmS0_PKT_mPKmS5_mmm
    .private_segment_fixed_size: 0
    .sgpr_count:     14
    .sgpr_spill_count: 0
    .symbol:         _Z23store_kv_cache_256x1_v2ImEvPmS0_PKT_mPKmS5_mmm.kd
    .uniform_work_group_size: 1
    .uses_dynamic_stack: false
    .vgpr_count:     16
    .vgpr_spill_count: 0
    .wavefront_size: 32
  - .args:
      - .actual_access:  write_only
        .address_space:  global
        .offset:         0
        .size:           8
        .value_kind:     global_buffer
      - .actual_access:  write_only
        .address_space:  global
        .offset:         8
        .size:           8
        .value_kind:     global_buffer
      - .actual_access:  read_only
        .address_space:  global
        .offset:         16
        .size:           8
        .value_kind:     global_buffer
      - .offset:         24
        .size:           8
        .value_kind:     by_value
      - .actual_access:  read_only
        .address_space:  global
        .offset:         32
        .size:           8
        .value_kind:     global_buffer
      - .actual_access:  read_only
        .address_space:  global
        .offset:         40
        .size:           8
        .value_kind:     global_buffer
      - .offset:         48
        .size:           8
        .value_kind:     by_value
      - .offset:         56
        .size:           8
        .value_kind:     by_value
      - .offset:         64
        .size:           8
        .value_kind:     by_value
      - .offset:         72
        .size:           4
        .value_kind:     hidden_block_count_x
      - .offset:         76
        .size:           4
        .value_kind:     hidden_block_count_y
      - .offset:         80
        .size:           4
        .value_kind:     hidden_block_count_z
      - .offset:         84
        .size:           2
        .value_kind:     hidden_group_size_x
      - .offset:         86
        .size:           2
        .value_kind:     hidden_group_size_y
      - .offset:         88
        .size:           2
        .value_kind:     hidden_group_size_z
      - .offset:         90
        .size:           2
        .value_kind:     hidden_remainder_x
      - .offset:         92
        .size:           2
        .value_kind:     hidden_remainder_y
      - .offset:         94
        .size:           2
        .value_kind:     hidden_remainder_z
      - .offset:         112
        .size:           8
        .value_kind:     hidden_global_offset_x
      - .offset:         120
        .size:           8
        .value_kind:     hidden_global_offset_y
      - .offset:         128
        .size:           8
        .value_kind:     hidden_global_offset_z
      - .offset:         136
        .size:           2
        .value_kind:     hidden_grid_dims
    .group_segment_fixed_size: 0
    .kernarg_segment_align: 8
    .kernarg_segment_size: 328
    .language:       OpenCL C
    .language_version:
      - 2
      - 0
    .max_flat_workgroup_size: 1024
    .name:           _Z20store_kv_cache_256x1ImEvPmS0_PKT_mPKmS5_mmm
    .private_segment_fixed_size: 0
    .sgpr_count:     14
    .sgpr_spill_count: 0
    .symbol:         _Z20store_kv_cache_256x1ImEvPmS0_PKT_mPKmS5_mmm.kd
    .uniform_work_group_size: 1
    .uses_dynamic_stack: false
    .vgpr_count:     12
    .vgpr_spill_count: 0
    .wavefront_size: 32
  - .args:
      - .actual_access:  write_only
        .address_space:  global
        .offset:         0
        .size:           8
        .value_kind:     global_buffer
      - .actual_access:  write_only
        .address_space:  global
        .offset:         8
        .size:           8
        .value_kind:     global_buffer
      - .actual_access:  read_only
        .address_space:  global
        .offset:         16
        .size:           8
        .value_kind:     global_buffer
      - .offset:         24
        .size:           8
        .value_kind:     by_value
      - .actual_access:  read_only
        .address_space:  global
        .offset:         32
        .size:           8
        .value_kind:     global_buffer
      - .actual_access:  read_only
        .address_space:  global
        .offset:         40
        .size:           8
        .value_kind:     global_buffer
      - .offset:         48
        .size:           8
        .value_kind:     by_value
      - .offset:         56
        .size:           8
        .value_kind:     by_value
      - .offset:         64
        .size:           8
        .value_kind:     by_value
      - .offset:         72
        .size:           4
        .value_kind:     hidden_block_count_x
      - .offset:         76
        .size:           4
        .value_kind:     hidden_block_count_y
      - .offset:         80
        .size:           4
        .value_kind:     hidden_block_count_z
      - .offset:         84
        .size:           2
        .value_kind:     hidden_group_size_x
      - .offset:         86
        .size:           2
        .value_kind:     hidden_group_size_y
      - .offset:         88
        .size:           2
        .value_kind:     hidden_group_size_z
      - .offset:         90
        .size:           2
        .value_kind:     hidden_remainder_x
      - .offset:         92
        .size:           2
        .value_kind:     hidden_remainder_y
      - .offset:         94
        .size:           2
        .value_kind:     hidden_remainder_z
      - .offset:         112
        .size:           8
        .value_kind:     hidden_global_offset_x
      - .offset:         120
        .size:           8
        .value_kind:     hidden_global_offset_y
      - .offset:         128
        .size:           8
        .value_kind:     hidden_global_offset_z
      - .offset:         136
        .size:           2
        .value_kind:     hidden_grid_dims
    .group_segment_fixed_size: 0
    .kernarg_segment_align: 8
    .kernarg_segment_size: 328
    .language:       OpenCL C
    .language_version:
      - 2
      - 0
    .max_flat_workgroup_size: 1024
    .name:           _Z20store_kv_cache_128x2ImEvPmS0_PKT_mPKmS5_mmm
    .private_segment_fixed_size: 0
    .sgpr_count:     18
    .sgpr_spill_count: 0
    .symbol:         _Z20store_kv_cache_128x2ImEvPmS0_PKT_mPKmS5_mmm.kd
    .uniform_work_group_size: 1
    .uses_dynamic_stack: false
    .vgpr_count:     11
    .vgpr_spill_count: 0
    .wavefront_size: 32
amdhsa.target:   amdgcn-amd-amdhsa--gfx1250
amdhsa.version:
  - 1
  - 2
...

	.end_amdgpu_metadata
